;; amdgpu-corpus repo=ROCm/rocFFT kind=compiled arch=gfx950 opt=O3
	.text
	.amdgcn_target "amdgcn-amd-amdhsa--gfx950"
	.amdhsa_code_object_version 6
	.protected	fft_rtc_fwd_len1620_factors_10_3_3_6_3_wgs_162_tpt_162_halfLds_sp_ip_CI_sbrr_dirReg ; -- Begin function fft_rtc_fwd_len1620_factors_10_3_3_6_3_wgs_162_tpt_162_halfLds_sp_ip_CI_sbrr_dirReg
	.globl	fft_rtc_fwd_len1620_factors_10_3_3_6_3_wgs_162_tpt_162_halfLds_sp_ip_CI_sbrr_dirReg
	.p2align	8
	.type	fft_rtc_fwd_len1620_factors_10_3_3_6_3_wgs_162_tpt_162_halfLds_sp_ip_CI_sbrr_dirReg,@function
fft_rtc_fwd_len1620_factors_10_3_3_6_3_wgs_162_tpt_162_halfLds_sp_ip_CI_sbrr_dirReg: ; @fft_rtc_fwd_len1620_factors_10_3_3_6_3_wgs_162_tpt_162_halfLds_sp_ip_CI_sbrr_dirReg
; %bb.0:
	s_load_dwordx2 s[6:7], s[0:1], 0x18
	s_load_dwordx4 s[8:11], s[0:1], 0x0
	s_load_dwordx2 s[4:5], s[0:1], 0x50
	v_mul_u32_u24_e32 v1, 0x195, v0
	v_add_u32_sdwa v6, s2, v1 dst_sel:DWORD dst_unused:UNUSED_PAD src0_sel:DWORD src1_sel:WORD_1
	s_waitcnt lgkmcnt(0)
	s_load_dwordx2 s[12:13], s[6:7], 0x0
	v_mov_b32_e32 v4, 0
	v_cmp_lt_u64_e64 s[2:3], s[10:11], 2
	v_mov_b32_e32 v7, v4
	s_and_b64 vcc, exec, s[2:3]
	v_mov_b64_e32 v[2:3], 0
	s_cbranch_vccnz .LBB0_8
; %bb.1:
	s_load_dwordx2 s[2:3], s[0:1], 0x10
	s_add_u32 s14, s6, 8
	s_addc_u32 s15, s7, 0
	s_mov_b64 s[16:17], 1
	v_mov_b64_e32 v[2:3], 0
	s_waitcnt lgkmcnt(0)
	s_add_u32 s18, s2, 8
	s_addc_u32 s19, s3, 0
.LBB0_2:                                ; =>This Inner Loop Header: Depth=1
	s_load_dwordx2 s[20:21], s[18:19], 0x0
                                        ; implicit-def: $vgpr8_vgpr9
	s_waitcnt lgkmcnt(0)
	v_or_b32_e32 v5, s21, v7
	v_cmp_ne_u64_e32 vcc, 0, v[4:5]
	s_and_saveexec_b64 s[2:3], vcc
	s_xor_b64 s[22:23], exec, s[2:3]
	s_cbranch_execz .LBB0_4
; %bb.3:                                ;   in Loop: Header=BB0_2 Depth=1
	v_cvt_f32_u32_e32 v1, s20
	v_cvt_f32_u32_e32 v5, s21
	s_sub_u32 s2, 0, s20
	s_subb_u32 s3, 0, s21
	v_fmac_f32_e32 v1, 0x4f800000, v5
	v_rcp_f32_e32 v1, v1
	s_nop 0
	v_mul_f32_e32 v1, 0x5f7ffffc, v1
	v_mul_f32_e32 v5, 0x2f800000, v1
	v_trunc_f32_e32 v5, v5
	v_fmac_f32_e32 v1, 0xcf800000, v5
	v_cvt_u32_f32_e32 v5, v5
	v_cvt_u32_f32_e32 v1, v1
	v_mul_lo_u32 v8, s2, v5
	v_mul_hi_u32 v10, s2, v1
	v_mul_lo_u32 v9, s3, v1
	v_add_u32_e32 v10, v10, v8
	v_mul_lo_u32 v12, s2, v1
	v_add_u32_e32 v13, v10, v9
	v_mul_hi_u32 v8, v1, v12
	v_mul_hi_u32 v11, v1, v13
	v_mul_lo_u32 v10, v1, v13
	v_mov_b32_e32 v9, v4
	v_lshl_add_u64 v[8:9], v[8:9], 0, v[10:11]
	v_mul_hi_u32 v11, v5, v12
	v_mul_lo_u32 v12, v5, v12
	v_add_co_u32_e32 v8, vcc, v8, v12
	v_mul_hi_u32 v10, v5, v13
	s_nop 0
	v_addc_co_u32_e32 v8, vcc, v9, v11, vcc
	v_mov_b32_e32 v9, v4
	s_nop 0
	v_addc_co_u32_e32 v11, vcc, 0, v10, vcc
	v_mul_lo_u32 v10, v5, v13
	v_lshl_add_u64 v[8:9], v[8:9], 0, v[10:11]
	v_add_co_u32_e32 v1, vcc, v1, v8
	v_mul_lo_u32 v10, s2, v1
	s_nop 0
	v_addc_co_u32_e32 v5, vcc, v5, v9, vcc
	v_mul_lo_u32 v8, s2, v5
	v_mul_hi_u32 v9, s2, v1
	v_add_u32_e32 v8, v9, v8
	v_mul_lo_u32 v9, s3, v1
	v_add_u32_e32 v12, v8, v9
	v_mul_hi_u32 v14, v5, v10
	v_mul_lo_u32 v15, v5, v10
	v_mul_hi_u32 v9, v1, v12
	v_mul_lo_u32 v8, v1, v12
	v_mul_hi_u32 v10, v1, v10
	v_mov_b32_e32 v11, v4
	v_lshl_add_u64 v[8:9], v[10:11], 0, v[8:9]
	v_add_co_u32_e32 v8, vcc, v8, v15
	v_mul_hi_u32 v13, v5, v12
	s_nop 0
	v_addc_co_u32_e32 v8, vcc, v9, v14, vcc
	v_mul_lo_u32 v10, v5, v12
	s_nop 0
	v_addc_co_u32_e32 v11, vcc, 0, v13, vcc
	v_mov_b32_e32 v9, v4
	v_lshl_add_u64 v[8:9], v[8:9], 0, v[10:11]
	v_add_co_u32_e32 v1, vcc, v1, v8
	v_mul_hi_u32 v10, v6, v1
	s_nop 0
	v_addc_co_u32_e32 v5, vcc, v5, v9, vcc
	v_mad_u64_u32 v[8:9], s[2:3], v6, v5, 0
	v_mov_b32_e32 v11, v4
	v_lshl_add_u64 v[8:9], v[10:11], 0, v[8:9]
	v_mad_u64_u32 v[12:13], s[2:3], v7, v1, 0
	v_add_co_u32_e32 v1, vcc, v8, v12
	v_mad_u64_u32 v[10:11], s[2:3], v7, v5, 0
	s_nop 0
	v_addc_co_u32_e32 v8, vcc, v9, v13, vcc
	v_mov_b32_e32 v9, v4
	s_nop 0
	v_addc_co_u32_e32 v11, vcc, 0, v11, vcc
	v_lshl_add_u64 v[8:9], v[8:9], 0, v[10:11]
	v_mul_lo_u32 v1, s21, v8
	v_mul_lo_u32 v5, s20, v9
	v_mad_u64_u32 v[10:11], s[2:3], s20, v8, 0
	v_add3_u32 v1, v11, v5, v1
	v_sub_u32_e32 v5, v7, v1
	v_mov_b32_e32 v11, s21
	v_sub_co_u32_e32 v14, vcc, v6, v10
	v_lshl_add_u64 v[12:13], v[8:9], 0, 1
	s_nop 0
	v_subb_co_u32_e64 v5, s[2:3], v5, v11, vcc
	v_subrev_co_u32_e64 v10, s[2:3], s20, v14
	v_subb_co_u32_e32 v1, vcc, v7, v1, vcc
	s_nop 0
	v_subbrev_co_u32_e64 v5, s[2:3], 0, v5, s[2:3]
	v_cmp_le_u32_e64 s[2:3], s21, v5
	v_cmp_le_u32_e32 vcc, s21, v1
	s_nop 0
	v_cndmask_b32_e64 v11, 0, -1, s[2:3]
	v_cmp_le_u32_e64 s[2:3], s20, v10
	s_nop 1
	v_cndmask_b32_e64 v10, 0, -1, s[2:3]
	v_cmp_eq_u32_e64 s[2:3], s21, v5
	s_nop 1
	v_cndmask_b32_e64 v5, v11, v10, s[2:3]
	v_lshl_add_u64 v[10:11], v[8:9], 0, 2
	v_cmp_ne_u32_e64 s[2:3], 0, v5
	s_nop 1
	v_cndmask_b32_e64 v5, v13, v11, s[2:3]
	v_cndmask_b32_e64 v11, 0, -1, vcc
	v_cmp_le_u32_e32 vcc, s20, v14
	s_nop 1
	v_cndmask_b32_e64 v13, 0, -1, vcc
	v_cmp_eq_u32_e32 vcc, s21, v1
	s_nop 1
	v_cndmask_b32_e32 v1, v11, v13, vcc
	v_cmp_ne_u32_e32 vcc, 0, v1
	v_cndmask_b32_e64 v1, v12, v10, s[2:3]
	s_nop 0
	v_cndmask_b32_e32 v9, v9, v5, vcc
	v_cndmask_b32_e32 v8, v8, v1, vcc
.LBB0_4:                                ;   in Loop: Header=BB0_2 Depth=1
	s_andn2_saveexec_b64 s[2:3], s[22:23]
	s_cbranch_execz .LBB0_6
; %bb.5:                                ;   in Loop: Header=BB0_2 Depth=1
	v_cvt_f32_u32_e32 v1, s20
	s_sub_i32 s22, 0, s20
	v_rcp_iflag_f32_e32 v1, v1
	s_nop 0
	v_mul_f32_e32 v1, 0x4f7ffffe, v1
	v_cvt_u32_f32_e32 v1, v1
	v_mul_lo_u32 v5, s22, v1
	v_mul_hi_u32 v5, v1, v5
	v_add_u32_e32 v1, v1, v5
	v_mul_hi_u32 v1, v6, v1
	v_mul_lo_u32 v5, v1, s20
	v_sub_u32_e32 v5, v6, v5
	v_add_u32_e32 v8, 1, v1
	v_subrev_u32_e32 v9, s20, v5
	v_cmp_le_u32_e32 vcc, s20, v5
	s_nop 1
	v_cndmask_b32_e32 v5, v5, v9, vcc
	v_cndmask_b32_e32 v1, v1, v8, vcc
	v_add_u32_e32 v8, 1, v1
	v_cmp_le_u32_e32 vcc, s20, v5
	v_mov_b32_e32 v9, v4
	s_nop 0
	v_cndmask_b32_e32 v8, v1, v8, vcc
.LBB0_6:                                ;   in Loop: Header=BB0_2 Depth=1
	s_or_b64 exec, exec, s[2:3]
	v_mad_u64_u32 v[10:11], s[2:3], v8, s20, 0
	s_load_dwordx2 s[2:3], s[14:15], 0x0
	v_mul_lo_u32 v1, v9, s20
	v_mul_lo_u32 v5, v8, s21
	v_add3_u32 v1, v11, v5, v1
	v_sub_co_u32_e32 v5, vcc, v6, v10
	s_add_u32 s16, s16, 1
	s_nop 0
	v_subb_co_u32_e32 v1, vcc, v7, v1, vcc
	s_addc_u32 s17, s17, 0
	s_waitcnt lgkmcnt(0)
	v_mul_lo_u32 v1, s2, v1
	v_mul_lo_u32 v6, s3, v5
	v_mad_u64_u32 v[2:3], s[2:3], s2, v5, v[2:3]
	s_add_u32 s14, s14, 8
	v_add3_u32 v3, v6, v3, v1
	s_addc_u32 s15, s15, 0
	v_mov_b64_e32 v[6:7], s[10:11]
	s_add_u32 s18, s18, 8
	v_cmp_ge_u64_e32 vcc, s[16:17], v[6:7]
	s_addc_u32 s19, s19, 0
	s_cbranch_vccnz .LBB0_9
; %bb.7:                                ;   in Loop: Header=BB0_2 Depth=1
	v_mov_b64_e32 v[6:7], v[8:9]
	s_branch .LBB0_2
.LBB0_8:
	v_mov_b64_e32 v[8:9], v[6:7]
.LBB0_9:
	s_lshl_b64 s[2:3], s[10:11], 3
	s_add_u32 s2, s6, s2
	s_addc_u32 s3, s7, s3
	s_load_dwordx2 s[6:7], s[2:3], 0x0
	s_load_dwordx2 s[10:11], s[0:1], 0x20
	s_mov_b32 s2, 0x1948b10
                                        ; implicit-def: $vgpr50
                                        ; implicit-def: $vgpr51
                                        ; implicit-def: $vgpr49
	s_waitcnt lgkmcnt(0)
	v_mul_lo_u32 v1, s6, v9
	v_mul_lo_u32 v4, s7, v8
	v_mad_u64_u32 v[2:3], s[0:1], s6, v8, v[2:3]
	v_add3_u32 v3, v4, v3, v1
	v_mul_hi_u32 v1, v0, s2
	v_mul_u32_u24_e32 v1, 0xa2, v1
	v_cmp_gt_u64_e32 vcc, s[10:11], v[8:9]
	v_cmp_le_u64_e64 s[0:1], s[10:11], v[8:9]
	v_sub_u32_e32 v48, v0, v1
	s_and_saveexec_b64 s[2:3], s[0:1]
	s_xor_b64 s[0:1], exec, s[2:3]
; %bb.10:
	v_add_u32_e32 v50, 0xa2, v48
	v_add_u32_e32 v51, 0x144, v48
	v_add_u32_e32 v49, 0x1e6, v48
; %bb.11:
	s_or_saveexec_b64 s[0:1], s[0:1]
	v_lshl_add_u64 v[0:1], v[2:3], 3, s[4:5]
                                        ; implicit-def: $vgpr21
                                        ; implicit-def: $vgpr27
                                        ; implicit-def: $vgpr19
                                        ; implicit-def: $vgpr24
                                        ; implicit-def: $vgpr2
                                        ; implicit-def: $vgpr4
                                        ; implicit-def: $vgpr10
                                        ; implicit-def: $vgpr8
                                        ; implicit-def: $vgpr12
                                        ; implicit-def: $vgpr16
                                        ; implicit-def: $vgpr6
                                        ; implicit-def: $vgpr14
                                        ; implicit-def: $vgpr23
	s_xor_b64 exec, exec, s[0:1]
	s_cbranch_execz .LBB0_13
; %bb.12:
	v_mad_u64_u32 v[2:3], s[2:3], s12, v48, 0
	v_mov_b32_e32 v4, v3
	v_mad_u64_u32 v[4:5], s[2:3], s13, v48, v[4:5]
	v_mov_b32_e32 v3, v4
	v_add_u32_e32 v50, 0xa2, v48
	v_lshl_add_u64 v[4:5], v[2:3], 3, v[0:1]
	v_mad_u64_u32 v[2:3], s[2:3], s12, v50, 0
	v_mov_b32_e32 v6, v3
	v_mad_u64_u32 v[6:7], s[2:3], s13, v50, v[6:7]
	v_mov_b32_e32 v3, v6
	v_add_u32_e32 v51, 0x144, v48
	v_lshl_add_u64 v[6:7], v[2:3], 3, v[0:1]
	;; [unrolled: 6-line block ×3, first 2 shown]
	v_mad_u64_u32 v[2:3], s[2:3], s12, v49, 0
	v_mov_b32_e32 v10, v3
	v_mad_u64_u32 v[10:11], s[2:3], s13, v49, v[10:11]
	v_mov_b32_e32 v3, v10
	v_lshl_add_u64 v[10:11], v[2:3], 3, v[0:1]
	global_load_dwordx2 v[14:15], v[4:5], off
	global_load_dwordx2 v[24:25], v[6:7], off
	global_load_dwordx2 v[2:3], v[8:9], off
	global_load_dwordx2 v[22:23], v[10:11], off
	v_add_u32_e32 v7, 0x288, v48
	v_mad_u64_u32 v[4:5], s[2:3], s12, v7, 0
	v_mov_b32_e32 v6, v5
	v_mad_u64_u32 v[6:7], s[2:3], s13, v7, v[6:7]
	v_add_u32_e32 v9, 0x32a, v48
	v_mov_b32_e32 v5, v6
	v_mad_u64_u32 v[6:7], s[2:3], s12, v9, 0
	v_mov_b32_e32 v8, v7
	v_mad_u64_u32 v[8:9], s[2:3], s13, v9, v[8:9]
	v_mov_b32_e32 v7, v8
	v_add_u32_e32 v9, 0x3cc, v48
	v_lshl_add_u64 v[18:19], v[6:7], 3, v[0:1]
	v_mad_u64_u32 v[6:7], s[2:3], s12, v9, 0
	v_mov_b32_e32 v8, v7
	v_mad_u64_u32 v[8:9], s[2:3], s13, v9, v[8:9]
	v_mov_b32_e32 v7, v8
	v_add_u32_e32 v9, 0x46e, v48
	v_lshl_add_u64 v[20:21], v[6:7], 3, v[0:1]
	;; [unrolled: 6-line block ×4, first 2 shown]
	v_mad_u64_u32 v[6:7], s[2:3], s12, v9, 0
	v_mov_b32_e32 v8, v7
	v_mad_u64_u32 v[8:9], s[2:3], s13, v9, v[8:9]
	v_lshl_add_u64 v[4:5], v[4:5], 3, v[0:1]
	v_mov_b32_e32 v7, v8
	global_load_dwordx2 v[4:5], v[4:5], off
	v_lshl_add_u64 v[30:31], v[6:7], 3, v[0:1]
	global_load_dwordx2 v[10:11], v[26:27], off
	global_load_dwordx2 v[6:7], v[20:21], off
	;; [unrolled: 1-line block ×5, first 2 shown]
	s_waitcnt vmcnt(7)
	v_mov_b32_e32 v19, v2
	s_waitcnt vmcnt(6)
	v_mov_b32_e32 v27, v22
	v_mov_b32_e32 v2, v23
	;; [unrolled: 1-line block ×3, first 2 shown]
	s_waitcnt vmcnt(5)
	v_mov_b32_e32 v21, v4
	v_mov_b32_e32 v4, v25
.LBB0_13:
	s_or_b64 exec, exec, s[0:1]
	s_waitcnt vmcnt(3)
	v_mov_b32_e32 v20, v6
	s_waitcnt vmcnt(1)
	v_mov_b32_e32 v18, v16
	v_add_f32_e32 v15, v16, v19
	v_pk_add_f32 v[34:35], v[20:21], v[18:19] neg_lo:[0,1] neg_hi:[0,1]
	s_waitcnt vmcnt(0)
	v_mov_b32_e32 v26, v8
	v_mov_b32_e32 v36, v10
	;; [unrolled: 1-line block ×3, first 2 shown]
	s_mov_b32 s6, 0x3f167918
	v_mul_f32_e32 v43, 0.5, v15
	v_add_f32_e32 v15, v34, v35
	v_pk_add_f32 v[34:35], v[10:11], v[12:13]
	v_pk_add_f32 v[36:37], v[26:27], v[36:37] neg_lo:[0,1] neg_hi:[0,1]
	s_mov_b32 s7, 0x3f737871
	v_mul_f32_e32 v18, 0x3e9e377a, v15
	v_add_f32_e32 v44, v27, v24
	v_fma_f32 v15, -0.5, v34, v24
	v_mov_b32_e32 v25, v36
	v_fma_f32 v20, -0.5, v35, v4
	v_mov_b32_e32 v34, v9
	v_mov_b32_e32 v35, v2
	;; [unrolled: 1-line block ×6, first 2 shown]
	v_pk_add_f32 v[40:41], v[12:13], v[10:11] neg_lo:[0,1] neg_hi:[0,1]
	v_pk_add_f32 v[46:47], v[24:25], v[36:37]
	v_pk_add_f32 v[34:35], v[34:35], v[54:55] neg_lo:[0,1] neg_hi:[0,1]
	v_pk_add_f32 v[54:55], v[8:9], v[26:27]
	v_mov_b32_e32 v25, v4
	s_mov_b32 s2, s7
	v_pk_add_f32 v[36:37], v[10:11], v[8:9] neg_lo:[0,1] neg_hi:[0,1]
	v_add_f32_e32 v29, v34, v35
	v_pk_add_f32 v[34:35], v[26:27], v[8:9] neg_lo:[0,1] neg_hi:[0,1]
	v_pk_fma_f32 v[24:25], -0.5, v[54:55], v[24:25] op_sel_hi:[0,1,1]
	v_pk_mul_f32 v[54:55], v[40:41], s[2:3] op_sel_hi:[1,0]
	v_pk_add_f32 v[26:27], v[12:13], v[26:27] neg_lo:[0,1] neg_hi:[0,1]
	s_mov_b32 s5, 0x3e9e377a
	v_pk_add_f32 v[26:27], v[36:37], v[26:27]
	v_pk_add_f32 v[36:37], v[54:55], v[24:25] op_sel:[1,0] op_sel_hi:[0,1]
	v_pk_add_f32 v[24:25], v[24:25], v[54:55] op_sel:[0,1] op_sel_hi:[1,0] neg_lo:[0,1] neg_hi:[0,1]
	v_mov_b32_e32 v54, v40
	v_mov_b32_e32 v55, v34
	v_fmamk_f32 v32, v35, 0x3f737871, v15
	v_fmac_f32_e32 v15, 0xbf737871, v35
	v_pk_mul_f32 v[54:55], v[54:55], s[6:7]
	v_pk_mul_f32 v[34:35], v[34:35], s[6:7] op_sel_hi:[1,0]
	v_pk_add_f32 v[30:31], v[16:17], v[6:7] neg_lo:[0,1] neg_hi:[0,1]
	s_mov_b32 s0, 0.5
	v_pk_add_f32 v[36:37], v[36:37], v[34:35] op_sel:[0,1] op_sel_hi:[1,0] neg_lo:[0,1] neg_hi:[0,1]
	v_pk_add_f32 v[24:25], v[34:35], v[24:25] op_sel:[1,0] op_sel_hi:[0,1]
	v_sub_f32_e32 v34, v20, v55
	v_add_f32_e32 v20, v55, v20
	v_mul_f32_e32 v59, 0x3e9e377a, v29
	s_mov_b32 s2, s5
	s_mov_b32 s1, s6
	v_add_f32_e32 v28, v6, v21
	v_sub_f32_e32 v38, v19, v21
	v_sub_f32_e32 v57, v34, v54
	v_add_f32_e32 v56, v3, v23
	v_add_f32_e32 v55, v54, v20
	v_mov_b32_e32 v58, v5
	v_pk_fma_f32 v[34:35], v[26:27], s[2:3], v[36:37] op_sel_hi:[1,0,1]
	v_pk_fma_f32 v[36:37], v[26:27], s[2:3], v[24:25] op_sel_hi:[1,0,1]
	v_mov_b32_e32 v29, v41
	v_pk_mul_f32 v[24:25], v[40:41], s[0:1]
	v_mov_b32_e32 v54, v30
	v_mov_b32_e32 v39, v59
	v_pk_fma_f32 v[26:27], v[28:29], s[0:1], v[14:15] neg_lo:[1,0,0] neg_hi:[1,0,0]
	v_pk_add_f32 v[40:41], v[54:55], v[38:39]
	v_pk_add_f32 v[38:39], v[58:59], v[56:57]
	v_mov_b32_e32 v24, v19
	v_mov_b32_e32 v15, v32
	;; [unrolled: 1-line block ×5, first 2 shown]
	v_sub_f32_e32 v22, v5, v7
	v_pk_add_f32 v[24:25], v[24:25], v[14:15]
	v_pk_add_f32 v[14:15], v[58:59], v[42:43] neg_lo:[0,1] neg_hi:[0,1]
	v_mul_f32_e32 v33, 0x3f737871, v22
	v_mov_b32_e32 v32, 0x3f167918
	v_pk_mul_f32 v[58:59], v[14:15], s[6:7]
	v_fmamk_f32 v42, v22, 0xbf737871, v15
	v_mov_b32_e32 v43, v58
	v_pk_add_f32 v[58:59], v[14:15], v[32:33]
	s_mov_b32 s4, s7
	v_pk_add_f32 v[58:59], v[58:59], v[42:43] neg_lo:[0,1] neg_hi:[0,1]
	v_pk_fma_f32 v[42:43], v[14:15], v[32:33], v[42:43]
	v_mov_b32_e32 v15, v47
	v_mov_b32_e32 v43, v59
	v_pk_add_f32 v[60:61], v[18:19], v[42:43] op_sel_hi:[0,1]
	v_pk_mul_f32 v[42:43], v[14:15], s[4:5]
	v_mul_f32_e32 v52, 0x3f167918, v22
	s_mov_b32 s0, s5
	v_mov_b32_e32 v45, v26
	v_mov_b32_e32 v46, v12
	v_mov_b32_e32 v47, v42
	v_pk_mul_f32 v[28:29], v[40:41], s[0:1]
	v_mov_b32_e32 v53, 0x3f4f1bbd
	v_mov_b32_e32 v58, v10
	;; [unrolled: 1-line block ×3, first 2 shown]
	v_pk_add_f32 v[44:45], v[46:47], v[44:45]
	v_mov_b32_e32 v42, v21
	v_mov_b32_e32 v46, v8
	;; [unrolled: 1-line block ×3, first 2 shown]
	v_pk_add_f32 v[44:45], v[58:59], v[44:45]
	v_mov_b32_e32 v58, v6
	v_mov_b32_e32 v59, v53
	s_mov_b32 s3, s7
	v_pk_add_f32 v[42:43], v[42:43], v[24:25]
	v_pk_add_f32 v[62:63], v[46:47], v[44:45]
	v_pk_mul_f32 v[44:45], v[34:35], s[2:3]
	v_pk_add_f32 v[24:25], v[6:7], v[42:43]
	v_pk_mul_f32 v[46:47], v[58:59], v[42:43]
	v_mul_f32_e32 v57, 0x3f167918, v39
	v_mov_b32_e32 v56, v16
	v_mov_b32_e32 v25, v47
	v_pk_fma_f32 v[58:59], v[36:37], s[2:3], v[44:45] op_sel:[0,0,1] op_sel_hi:[1,1,0]
	v_pk_fma_f32 v[64:65], v[36:37], s[2:3], v[44:45] op_sel:[0,0,1] op_sel_hi:[1,1,0] neg_lo:[0,0,1] neg_hi:[0,0,1]
	v_pk_add_f32 v[24:25], v[56:57], v[24:25]
	v_mov_b32_e32 v59, v65
	v_mad_u32_u24 v54, v48, 40, 0
	v_pk_add_f32 v[44:45], v[60:61], v[58:59]
	v_pk_add_f32 v[46:47], v[62:63], v[24:25]
	ds_write2_b64 v54, v[46:47], v[44:45] offset1:1
	v_pk_fma_f32 v[56:57], v[14:15], s[4:5], v[26:27] neg_lo:[1,0,0] neg_hi:[1,0,0]
	v_pk_fma_f32 v[46:47], v[14:15], s[4:5], v[26:27]
	s_mov_b32 s11, 0x3f4f1bbd
	v_pk_add_f32 v[14:15], v[56:57], v[52:53] neg_lo:[0,1] neg_hi:[0,1]
	v_pk_fma_f32 v[26:27], v[46:47], s[10:11], v[28:29] neg_lo:[1,0,0] neg_hi:[1,0,0]
	v_pk_fma_f32 v[14:15], v[40:41], s[0:1], v[14:15]
	v_mov_b32_e32 v29, v24
	v_mov_b32_e32 v52, v27
	;; [unrolled: 1-line block ×5, first 2 shown]
	v_pk_add_f32 v[28:29], v[28:29], v[52:53] neg_lo:[0,1] neg_hi:[0,1]
	v_pk_add_f32 v[52:53], v[14:15], v[52:53]
	v_mov_b32_e32 v56, v63
	v_mov_b32_e32 v57, v60
	v_pk_add_f32 v[24:25], v[56:57], v[24:25] neg_lo:[0,1] neg_hi:[0,1]
	v_mov_b32_e32 v53, v29
	ds_write2_b64 v54, v[52:53], v[24:25] offset0:2 offset1:3
	v_mov_b32_e32 v24, v61
	v_mov_b32_e32 v25, v14
	;; [unrolled: 1-line block ×3, first 2 shown]
	s_movk_i32 s0, 0xffdc
	v_pk_add_f32 v[14:15], v[24:25], v[26:27] neg_lo:[0,1] neg_hi:[0,1]
	v_mad_i32_i24 v40, v48, s0, v54
	ds_write_b64 v54, v[14:15] offset:32
	v_add_u32_e32 v10, 0x800, v40
	v_add_u32_e32 v14, 0xd00, v40
	v_lshl_add_u32 v52, v50, 2, 0
	v_add_u32_e32 v55, 0x1200, v40
	s_waitcnt lgkmcnt(0)
	s_barrier
	ds_read2_b32 v[28:29], v10 offset0:28 offset1:190
	ds_read2_b32 v[24:25], v14 offset0:32 offset1:248
	ds_read_b32 v12, v52
	v_lshl_add_u32 v46, v51, 2, 0
	ds_read_b32 v53, v40
	ds_read_b32 v18, v46
	ds_read2_b32 v[26:27], v55 offset0:90 offset1:252
	v_mov_b32_e32 v44, v17
	v_mov_b32_e32 v45, v17
	s_mov_b32 s14, 0xbf737871
	v_cmp_lt_u32_e64 s[2:3], 53, v48
	v_cmp_gt_u32_e64 s[0:1], 54, v48
	v_lshl_add_u32 v42, v49, 2, 0
                                        ; implicit-def: $vgpr20
                                        ; implicit-def: $vgpr8
	s_and_saveexec_b64 s[16:17], s[0:1]
	s_cbranch_execz .LBB0_15
; %bb.14:
	ds_read_b32 v15, v42
	ds_read_b32 v8, v40 offset:4104
	ds_read_b32 v20, v40 offset:6264
.LBB0_15:
	s_or_b64 exec, exec, s[16:17]
	v_pk_add_f32 v[58:59], v[2:3], v[4:5]
	v_pk_add_f32 v[60:61], v[2:3], v[4:5] neg_lo:[0,1] neg_hi:[0,1]
	v_add_f32_e32 v2, v17, v3
	v_add_f32_e32 v22, v7, v5
	v_mov_b32_e32 v30, v23
	v_sub_f32_e32 v56, v21, v6
	v_mul_f32_e32 v6, 0.5, v2
	v_fmac_f32_e32 v30, -0.5, v22
	v_mov_b32_e32 v4, v7
	v_mov_b32_e32 v2, v17
	;; [unrolled: 1-line block ×4, first 2 shown]
	v_pk_add_f32 v[2:3], v[4:5], v[2:3] neg_lo:[0,1] neg_hi:[0,1]
	v_pk_add_f32 v[4:5], v[22:23], v[16:17] neg_lo:[0,1] neg_hi:[0,1]
	v_add_f32_e32 v2, v2, v3
	v_mov_b32_e32 v57, v4
	v_pk_mul_f32 v[16:17], v[56:57], s[6:7]
	v_mul_f32_e32 v33, 0x3f737871, v56
	v_sub_f32_e32 v3, v30, v17
	v_sub_f32_e32 v23, v3, v16
	v_add_f32_e32 v3, v17, v30
	v_add_f32_e32 v3, v16, v3
	v_pk_mul_f32 v[16:17], v[4:5], s[6:7]
	v_mov_b32_e32 v59, v61
	v_pk_add_f32 v[60:61], v[4:5], v[32:33]
	v_fmamk_f32 v56, v56, 0xbf737871, v5
	v_mov_b32_e32 v57, v16
	v_pk_fma_f32 v[4:5], v[4:5], v[32:33], v[56:57]
	v_pk_add_f32 v[16:17], v[60:61], v[56:57] neg_lo:[0,1] neg_hi:[0,1]
	v_mov_b32_e32 v30, v13
	v_mov_b32_e32 v5, v17
	v_pk_add_f32 v[16:17], v[30:31], v[58:59]
	v_mov_b32_e32 v31, 0x3e9e377a
	v_mov_b32_e32 v30, v11
	v_pk_add_f32 v[32:33], v[30:31], v[16:17]
	v_pk_mul_f32 v[16:17], v[30:31], v[16:17]
	v_mov_b32_e32 v22, v9
	v_mov_b32_e32 v33, v17
	v_mul_f32_e32 v2, 0x3e9e377a, v2
	v_add_f32_e32 v6, v17, v3
	v_pk_add_f32 v[16:17], v[22:23], v[32:33]
	v_mov_b32_e32 v22, v7
	v_pk_add_f32 v[2:3], v[2:3], v[4:5] op_sel_hi:[0,1]
	v_pk_add_f32 v[4:5], v[22:23], v[38:39]
	s_mov_b32 s15, s5
	v_pk_mul_f32 v[22:23], v[36:37], s[4:5]
	v_mul_f32_e32 v5, 0x3f4f1bbd, v41
	s_mov_b32 s4, 0xbf167918
	v_pk_fma_f32 v[22:23], v[34:35], s[14:15], v[22:23] op_sel:[0,0,1] op_sel_hi:[1,1,0] neg_lo:[0,0,1] neg_hi:[0,0,1]
	v_fma_f32 v32, v47, s4, -v5
	v_pk_add_f32 v[30:31], v[2:3], v[22:23]
	v_mov_b32_e32 v35, v3
	v_mov_b32_e32 v3, v6
	;; [unrolled: 1-line block ×4, first 2 shown]
	v_pk_add_f32 v[2:3], v[2:3], v[36:37] neg_lo:[0,1] neg_hi:[0,1]
	v_mul_f32_e32 v37, 0x3f167918, v43
	v_mov_b32_e32 v36, v44
	v_pk_add_f32 v[4:5], v[4:5], v[44:45]
	v_pk_fma_f32 v[36:37], v[38:39], s[10:11], v[36:37] neg_lo:[0,0,1] neg_hi:[0,0,1]
	v_mov_b32_e32 v33, v16
	v_mov_b32_e32 v5, v37
	;; [unrolled: 1-line block ×4, first 2 shown]
	v_pk_add_f32 v[16:17], v[16:17], v[4:5]
	v_pk_add_f32 v[4:5], v[6:7], v[32:33]
	v_pk_add_f32 v[6:7], v[6:7], v[32:33] neg_lo:[0,1] neg_hi:[0,1]
	v_mov_b32_e32 v22, v37
	v_pk_add_f32 v[22:23], v[34:35], v[22:23] neg_lo:[0,1] neg_hi:[0,1]
	v_mov_b32_e32 v32, v31
	v_mov_b32_e32 v33, v30
	;; [unrolled: 1-line block ×3, first 2 shown]
	s_waitcnt lgkmcnt(0)
	s_barrier
	ds_write2_b64 v54, v[16:17], v[32:33] offset1:1
	ds_write2_b64 v54, v[4:5], v[22:23] offset0:2 offset1:3
	ds_write_b64 v54, v[2:3] offset:32
	s_waitcnt lgkmcnt(0)
	s_barrier
	ds_read2_b32 v[4:5], v10 offset0:28 offset1:190
	ds_read2_b32 v[6:7], v14 offset0:32 offset1:248
	ds_read_b32 v2, v52
	ds_read2_b32 v[10:11], v55 offset0:90 offset1:252
	ds_read_b32 v31, v40
	ds_read_b32 v30, v46
                                        ; implicit-def: $vgpr13
                                        ; implicit-def: $vgpr16
	s_and_saveexec_b64 s[4:5], s[0:1]
	s_cbranch_execz .LBB0_17
; %bb.16:
	ds_read_b32 v3, v42
	ds_read_b32 v16, v40 offset:4104
	ds_read_b32 v13, v40 offset:6264
.LBB0_17:
	s_or_b64 exec, exec, s[4:5]
	s_movk_i32 s4, 0xcd
	v_mul_lo_u16_sdwa v9, v48, s4 dst_sel:DWORD dst_unused:UNUSED_PAD src0_sel:BYTE_0 src1_sel:DWORD
	v_lshrrev_b16_e32 v9, 11, v9
	v_mul_lo_u16_e32 v14, 10, v9
	v_sub_u16_e32 v34, v48, v14
	v_mov_b32_e32 v14, 4
	v_lshlrev_b32_sdwa v14, v14, v34 dst_sel:DWORD dst_unused:UNUSED_PAD src0_sel:DWORD src1_sel:BYTE_0
	s_mov_b32 s4, 0xcccd
	global_load_dwordx4 v[54:57], v14, s[8:9]
	v_mul_u32_u24_sdwa v14, v50, s4 dst_sel:DWORD dst_unused:UNUSED_PAD src0_sel:WORD_0 src1_sel:DWORD
	v_lshrrev_b32_e32 v35, 19, v14
	v_mul_lo_u16_e32 v14, 10, v35
	v_sub_u16_e32 v41, v50, v14
	v_lshlrev_b32_e32 v14, 4, v41
	global_load_dwordx4 v[58:61], v14, s[8:9]
	v_mul_u32_u24_sdwa v14, v51, s4 dst_sel:DWORD dst_unused:UNUSED_PAD src0_sel:WORD_0 src1_sel:DWORD
	v_lshrrev_b32_e32 v43, 19, v14
	v_mul_lo_u16_e32 v14, 10, v43
	v_sub_u16_e32 v44, v51, v14
	v_lshlrev_b32_e32 v14, 4, v44
	;; [unrolled: 6-line block ×3, first 2 shown]
	global_load_dwordx4 v[66:69], v14, s[8:9]
	v_mul_u32_u24_e32 v45, 0x78, v9
	v_mov_b32_e32 v14, 0x3f5db3d7
	s_waitcnt lgkmcnt(0)
	s_barrier
	s_waitcnt vmcnt(3)
	v_mul_f32_e32 v32, v28, v55
	v_mul_f32_e32 v9, v4, v55
	;; [unrolled: 1-line block ×4, first 2 shown]
	v_fmac_f32_e32 v32, v4, v54
	v_fma_f32 v36, v28, v54, -v9
	s_waitcnt vmcnt(2)
	v_mul_f32_e32 v4, v5, v59
	v_fma_f32 v38, v25, v56, -v21
	v_fmac_f32_e32 v33, v7, v56
	v_mul_f32_e32 v25, v29, v59
	v_mul_f32_e32 v7, v10, v61
	v_fma_f32 v29, v29, v58, -v4
	v_mul_f32_e32 v37, v26, v61
	s_waitcnt vmcnt(1)
	v_mul_f32_e32 v21, v6, v63
	v_mul_f32_e32 v28, v24, v63
	v_fmac_f32_e32 v25, v5, v58
	v_mul_f32_e32 v22, v11, v65
	v_fma_f32 v26, v26, v60, -v7
	s_waitcnt vmcnt(0)
	v_mul_f32_e32 v9, v8, v66
	v_mul_f32_e32 v8, v8, v67
	;; [unrolled: 1-line block ×5, first 2 shown]
	v_fmac_f32_e32 v8, v16, v66
	v_fmac_f32_e32 v4, v13, v68
	v_mul_f32_e32 v39, v27, v65
	v_fma_f32 v24, v24, v62, -v21
	v_fmac_f32_e32 v28, v6, v62
	v_fma_f32 v27, v27, v64, -v22
	v_fma_f32 v21, v20, v68, -v7
	v_add_f32_e32 v6, v53, v36
	v_add_f32_e32 v7, v36, v38
	v_pk_add_f32 v[22:23], v[8:9], v[4:5] neg_lo:[0,1] neg_hi:[0,1]
	v_add_f32_e32 v5, v6, v38
	v_fmac_f32_e32 v53, -0.5, v7
	v_pk_add_f32 v[6:7], v[14:15], v[22:23]
	v_fmac_f32_e32 v37, v10, v60
	v_fmac_f32_e32 v39, v11, v64
	v_add_f32_e32 v10, v12, v29
	v_add_f32_e32 v11, v29, v26
	;; [unrolled: 1-line block ×5, first 2 shown]
	v_fmac_f32_e32 v12, -0.5, v11
	v_pk_mul_f32 v[10:11], v[14:15], v[22:23]
	v_fmac_f32_e32 v15, -0.5, v6
	v_add_f32_e32 v55, v20, v27
	v_mov_b32_e32 v11, v7
	v_mov_b32_e32 v20, v15
	v_pk_add_f32 v[6:7], v[10:11], v[20:21]
	v_mov_b32_e32 v11, 2
	v_sub_f32_e32 v13, v32, v33
	v_lshlrev_b32_sdwa v11, v11, v34 dst_sel:DWORD dst_unused:UNUSED_PAD src0_sel:DWORD src1_sel:BYTE_0
	v_fmamk_f32 v14, v13, 0x3f5db3d7, v53
	v_add3_u32 v20, 0, v45, v11
	v_sub_f32_e32 v16, v25, v37
	v_fmac_f32_e32 v53, 0xbf5db3d7, v13
	ds_write2_b32 v20, v5, v14 offset1:10
	ds_write_b32 v20, v53 offset:80
	v_mul_u32_u24_e32 v5, 0x78, v35
	v_lshlrev_b32_e32 v11, 2, v41
	v_add_f32_e32 v47, v24, v27
	v_fmamk_f32 v13, v16, 0x3f5db3d7, v12
	v_add3_u32 v22, 0, v5, v11
	v_sub_f32_e32 v54, v28, v39
	v_fmac_f32_e32 v18, -0.5, v47
	v_fmac_f32_e32 v12, 0xbf5db3d7, v16
	ds_write2_b32 v22, v9, v13 offset1:10
	ds_write_b32 v22, v12 offset:80
	v_mul_u32_u24_e32 v5, 0x78, v43
	v_lshlrev_b32_e32 v9, 2, v44
	v_fmamk_f32 v16, v54, 0x3f5db3d7, v18
	v_add3_u32 v41, 0, v5, v9
	v_fmac_f32_e32 v18, 0xbf5db3d7, v54
	ds_write2_b32 v41, v55, v16 offset1:10
	ds_write_b32 v41, v18 offset:80
	s_and_saveexec_b64 s[4:5], s[2:3]
	s_xor_b64 s[4:5], exec, s[4:5]
	s_or_saveexec_b64 s[4:5], s[4:5]
	v_sub_f32_e32 v11, v15, v10
	v_mul_lo_u16_e32 v10, 30, v19
	v_lshlrev_b32_e32 v12, 2, v17
	s_xor_b64 exec, exec, s[4:5]
	s_cbranch_execz .LBB0_19
; %bb.18:
	v_lshlrev_b32_e32 v5, 2, v10
	v_add3_u32 v5, 0, v12, v5
	ds_write2_b32 v5, v7, v6 offset1:10
	ds_write_b32 v5, v11 offset:80
.LBB0_19:
	s_or_b64 exec, exec, s[4:5]
	v_add_u32_e32 v5, 0x800, v40
	s_waitcnt lgkmcnt(0)
	s_barrier
	ds_read2_b32 v[16:17], v5 offset0:28 offset1:190
	v_add_u32_e32 v5, 0xd00, v40
	ds_read2_b32 v[18:19], v5 offset0:32 offset1:248
	ds_read_b32 v34, v52
	v_add_u32_e32 v5, 0x1200, v40
	ds_read2_b32 v[14:15], v5 offset0:90 offset1:252
	ds_read_b32 v35, v40
	ds_read_b32 v13, v46
	s_and_saveexec_b64 s[4:5], s[2:3]
	s_xor_b64 s[4:5], exec, s[4:5]
	s_andn2_saveexec_b64 s[4:5], s[4:5]
	s_cbranch_execz .LBB0_21
; %bb.20:
	ds_read_b32 v7, v42
	ds_read_b32 v6, v40 offset:4104
	ds_read_b32 v11, v40 offset:6264
.LBB0_21:
	s_or_b64 exec, exec, s[4:5]
	v_add_f32_e32 v5, v31, v32
	v_add_f32_e32 v43, v5, v33
	v_add_f32_e32 v5, v32, v33
	v_fmac_f32_e32 v31, -0.5, v5
	v_sub_f32_e32 v5, v36, v38
	v_fmamk_f32 v32, v5, 0xbf5db3d7, v31
	v_fmac_f32_e32 v31, 0x3f5db3d7, v5
	v_add_f32_e32 v5, v2, v25
	v_add_f32_e32 v33, v5, v37
	v_add_f32_e32 v5, v25, v37
	v_fmac_f32_e32 v2, -0.5, v5
	v_sub_f32_e32 v5, v29, v26
	v_fmamk_f32 v29, v5, 0xbf5db3d7, v2
	v_fmac_f32_e32 v2, 0x3f5db3d7, v5
	;; [unrolled: 7-line block ×3, first 2 shown]
	v_add_f32_e32 v5, v8, v4
	v_sub_f32_e32 v24, v23, v21
	v_mov_b32_e32 v26, 0x3f5db3d7
	v_mov_b32_e32 v27, v3
	;; [unrolled: 1-line block ×3, first 2 shown]
	v_fmac_f32_e32 v3, -0.5, v5
	v_pk_mul_f32 v[8:9], v[26:27], v[24:25]
	v_pk_add_f32 v[24:25], v[26:27], v[24:25]
	s_waitcnt lgkmcnt(0)
	v_mov_b32_e32 v9, v25
	v_mov_b32_e32 v24, v3
	;; [unrolled: 1-line block ×3, first 2 shown]
	v_pk_add_f32 v[4:5], v[8:9], v[24:25]
	s_barrier
	ds_write2_b32 v20, v43, v32 offset1:10
	ds_write_b32 v20, v31 offset:80
	ds_write2_b32 v22, v33, v29 offset1:10
	ds_write_b32 v22, v2 offset:80
	;; [unrolled: 2-line block ×3, first 2 shown]
                                        ; implicit-def: $vgpr2
	s_and_saveexec_b64 s[4:5], s[2:3]
	s_xor_b64 s[4:5], exec, s[4:5]
; %bb.22:
	v_mov_b32_e32 v2, v5
                                        ; implicit-def: $vgpr10
                                        ; implicit-def: $vgpr12
; %bb.23:
	s_or_saveexec_b64 s[4:5], s[4:5]
	v_sub_f32_e32 v8, v3, v8
	s_xor_b64 exec, exec, s[4:5]
	s_cbranch_execz .LBB0_25
; %bb.24:
	v_lshlrev_b32_e32 v2, 2, v10
	v_add3_u32 v2, 0, v12, v2
	ds_write2_b32 v2, v5, v8 offset1:10
	ds_write_b32 v2, v4 offset:80
	v_mov_b32_e32 v2, v5
.LBB0_25:
	s_or_b64 exec, exec, s[4:5]
	v_add_u32_e32 v3, 0x800, v40
	s_waitcnt lgkmcnt(0)
	s_barrier
	ds_read2_b32 v[30:31], v3 offset0:28 offset1:190
	v_add_u32_e32 v3, 0xd00, v40
	ds_read2_b32 v[28:29], v3 offset0:32 offset1:248
	ds_read_b32 v32, v52
	v_add_u32_e32 v3, 0x1200, v40
	ds_read2_b32 v[26:27], v3 offset0:90 offset1:252
	ds_read_b32 v33, v40
	ds_read_b32 v9, v46
	s_and_saveexec_b64 s[4:5], s[2:3]
	s_xor_b64 s[4:5], exec, s[4:5]
; %bb.26:
	v_mov_b32_e32 v5, v2
; %bb.27:
	s_andn2_saveexec_b64 s[4:5], s[4:5]
	s_cbranch_execz .LBB0_29
; %bb.28:
	ds_read_b32 v5, v42
	ds_read_b32 v8, v40 offset:4104
	ds_read_b32 v4, v40 offset:6264
	s_waitcnt lgkmcnt(2)
	v_mov_b32_e32 v2, v5
.LBB0_29:
	s_or_b64 exec, exec, s[4:5]
	s_movk_i32 s4, 0x89
	v_mul_lo_u16_sdwa v3, v48, s4 dst_sel:DWORD dst_unused:UNUSED_PAD src0_sel:BYTE_0 src1_sel:DWORD
	s_mov_b32 s4, 0x8889
	v_lshrrev_b16_e32 v53, 12, v3
	v_mul_u32_u24_sdwa v10, v50, s4 dst_sel:DWORD dst_unused:UNUSED_PAD src0_sel:WORD_0 src1_sel:DWORD
	v_mul_lo_u16_e32 v3, 30, v53
	v_lshrrev_b32_e32 v75, 20, v10
	v_sub_u16_e32 v74, v48, v3
	v_mov_b32_e32 v3, 4
	v_mul_lo_u16_e32 v10, 30, v75
	v_lshlrev_b32_sdwa v3, v3, v74 dst_sel:DWORD dst_unused:UNUSED_PAD src0_sel:DWORD src1_sel:BYTE_0
	v_sub_u16_e32 v76, v50, v10
	v_lshlrev_b32_e32 v10, 4, v76
	global_load_dwordx4 v[54:57], v3, s[8:9] offset:160
	global_load_dwordx4 v[58:61], v10, s[8:9] offset:160
	v_mul_u32_u24_sdwa v3, v51, s4 dst_sel:DWORD dst_unused:UNUSED_PAD src0_sel:WORD_0 src1_sel:DWORD
	v_lshrrev_b32_e32 v77, 20, v3
	v_mul_lo_u16_e32 v3, 30, v77
	v_sub_u16_e32 v78, v51, v3
	v_mul_u32_u24_sdwa v10, v49, s4 dst_sel:DWORD dst_unused:UNUSED_PAD src0_sel:WORD_0 src1_sel:DWORD
	v_lshlrev_b32_e32 v3, 4, v78
	v_lshrrev_b32_e32 v36, 20, v10
	global_load_dwordx4 v[62:65], v3, s[8:9] offset:160
	v_mul_lo_u16_e32 v3, 30, v36
	v_sub_u16_e32 v47, v49, v3
	v_lshlrev_b32_e32 v3, 4, v47
	global_load_dwordx4 v[66:69], v3, s[8:9] offset:160
	v_mov_b32_e32 v12, 0x3f5db3d7
	s_waitcnt lgkmcnt(2)
	v_mov_b32_e32 v72, v27
	s_waitcnt lgkmcnt(0)
	v_mov_b32_e32 v73, v4
	v_mov_b32_e32 v71, v7
	;; [unrolled: 1-line block ×4, first 2 shown]
	s_mov_b32 s4, 0x3f5db3d7
	s_barrier
	s_waitcnt vmcnt(3)
	v_mul_f32_e32 v22, v30, v55
	v_mul_f32_e32 v23, v29, v57
	s_waitcnt vmcnt(2)
	v_mul_f32_e32 v44, v31, v59
	v_fma_f32 v43, v16, v54, -v22
	v_mul_f32_e32 v38, v16, v55
	v_mul_f32_e32 v39, v19, v57
	;; [unrolled: 1-line block ×4, first 2 shown]
	v_fma_f32 v41, v19, v56, -v23
	s_waitcnt vmcnt(1)
	v_mul_f32_e32 v25, v18, v62
	v_mul_f32_e32 v24, v18, v63
	;; [unrolled: 1-line block ×4, first 2 shown]
	s_waitcnt vmcnt(0)
	v_mul_f32_e32 v22, v6, v67
	v_mul_f32_e32 v18, v11, v69
	;; [unrolled: 1-line block ×4, first 2 shown]
	v_mov_b32_e32 v55, v68
	v_fma_f32 v44, v17, v58, -v44
	v_fmac_f32_e32 v24, v28, v62
	v_fmac_f32_e32 v20, v27, v64
	;; [unrolled: 1-line block ×4, first 2 shown]
	v_mov_b32_e32 v68, v65
	v_mul_f32_e32 v3, v17, v59
	v_fmac_f32_e32 v38, v30, v54
	v_fmac_f32_e32 v39, v29, v56
	v_mov_b32_e32 v54, v64
	v_fma_f32 v45, v14, v60, -v45
	v_fmac_f32_e32 v37, v26, v60
	v_add_f32_e32 v28, v43, v41
	v_add_f32_e32 v29, v34, v44
	v_pk_add_f32 v[14:15], v[24:25], v[20:21] neg_lo:[0,1] neg_hi:[0,1]
	v_pk_add_f32 v[26:27], v[22:23], v[18:19] neg_lo:[0,1] neg_hi:[0,1]
	v_pk_mul_f32 v[16:17], v[72:73], v[68:69]
	v_fmac_f32_e32 v3, v31, v58
	v_add_f32_e32 v8, v35, v43
	v_fmac_f32_e32 v35, -0.5, v28
	v_add_f32_e32 v19, v29, v45
	v_pk_mul_f32 v[58:59], v[70:71], v[26:27]
	v_pk_add_f32 v[60:61], v[6:7], v[26:27]
	v_pk_fma_f32 v[28:29], v[10:11], v[54:55], v[16:17] neg_lo:[0,0,1] neg_hi:[0,0,1]
	v_mov_b32_e32 v26, v15
	v_mov_b32_e32 v21, 2
	v_sub_f32_e32 v62, v38, v39
	v_add_f32_e32 v30, v44, v45
	v_pk_add_f32 v[10:11], v[26:27], v[28:29]
	v_mov_b32_e32 v6, v13
	v_mul_u32_u24_e32 v17, 0x168, v53
	v_lshlrev_b32_sdwa v21, v21, v74 dst_sel:DWORD dst_unused:UNUSED_PAD src0_sel:DWORD src1_sel:BYTE_0
	v_add_f32_e32 v8, v8, v41
	v_fmac_f32_e32 v34, -0.5, v30
	v_pk_mul_f32 v[30:31], v[14:15], s[4:5]
	v_pk_add_f32 v[56:57], v[12:13], v[14:15]
	v_fmamk_f32 v14, v62, 0x3f5db3d7, v35
	v_pk_fma_f32 v[12:13], -0.5, v[10:11], v[6:7] op_sel_hi:[0,1,1]
	v_add3_u32 v53, 0, v17, v21
	v_sub_f32_e32 v63, v3, v37
	v_fmac_f32_e32 v35, 0xbf5db3d7, v62
	v_mov_b32_e32 v31, v57
	v_mov_b32_e32 v6, v12
	;; [unrolled: 1-line block ×3, first 2 shown]
	ds_write2_b32 v53, v8, v14 offset1:30
	ds_write_b32 v53, v35 offset:240
	v_mul_u32_u24_e32 v8, 0x168, v75
	v_lshlrev_b32_e32 v14, 2, v76
	v_fmamk_f32 v16, v63, 0x3f5db3d7, v34
	v_fmac_f32_e32 v34, 0xbf5db3d7, v63
	v_mov_b32_e32 v59, v61
	v_pk_add_f32 v[6:7], v[30:31], v[6:7]
	v_mov_b32_e32 v10, v13
	v_mov_b32_e32 v11, v29
	v_mov_b32_e32 v31, v58
	v_add3_u32 v35, 0, v8, v14
	v_mul_u32_u24_e32 v8, 0x168, v77
	v_lshlrev_b32_e32 v14, 2, v78
	v_pk_add_f32 v[10:11], v[58:59], v[10:11]
	v_pk_add_f32 v[12:13], v[12:13], v[30:31] neg_lo:[0,1] neg_hi:[0,1]
	ds_write2_b32 v35, v19, v16 offset1:30
	ds_write_b32 v35, v34 offset:240
	v_add3_u32 v34, 0, v8, v14
	ds_write2_b32 v34, v7, v6 offset1:30
	ds_write_b32 v34, v12 offset:240
	s_and_saveexec_b64 s[4:5], s[2:3]
	s_xor_b64 s[4:5], exec, s[4:5]
	s_or_saveexec_b64 s[4:5], s[4:5]
	v_lshlrev_b32_e32 v47, 2, v47
	s_xor_b64 exec, exec, s[4:5]
	s_cbranch_execz .LBB0_31
; %bb.30:
	v_mul_lo_u16_e32 v8, 0x5a, v36
	v_lshlrev_b32_e32 v8, 2, v8
	v_add3_u32 v8, 0, v47, v8
	ds_write2_b32 v8, v11, v10 offset1:30
	ds_write_b32 v8, v13 offset:240
.LBB0_31:
	s_or_b64 exec, exec, s[4:5]
	s_waitcnt lgkmcnt(0)
	s_barrier
	ds_read_b32 v19, v40
	ds_read_b32 v31, v40 offset:1080
	ds_read_b32 v30, v40 offset:2160
	;; [unrolled: 1-line block ×5, first 2 shown]
	s_movk_i32 s4, 0x6b
	v_cmp_lt_u32_e64 s[4:5], s4, v48
                                        ; implicit-def: $vgpr16_vgpr17
	s_and_saveexec_b64 s[6:7], s[4:5]
	s_xor_b64 s[6:7], exec, s[6:7]
; %bb.32:
	v_mov_b64_e32 v[16:17], v[6:7]
; %bb.33:
	s_andn2_saveexec_b64 s[6:7], s[6:7]
	s_cbranch_execz .LBB0_35
; %bb.34:
	ds_read_b32 v17, v52
	ds_read_b32 v16, v40 offset:1728
	ds_read_b32 v12, v40 offset:2808
	ds_read_b32 v11, v40 offset:3888
	ds_read_b32 v10, v40 offset:4968
	ds_read_b32 v13, v40 offset:6048
	s_waitcnt lgkmcnt(5)
	v_mov_b32_e32 v7, v17
.LBB0_35:
	s_or_b64 exec, exec, s[6:7]
	v_add_f32_e32 v6, v33, v38
	v_add_f32_e32 v54, v6, v39
	;; [unrolled: 1-line block ×3, first 2 shown]
	v_fmac_f32_e32 v33, -0.5, v6
	v_sub_f32_e32 v6, v43, v41
	v_fmamk_f32 v38, v6, 0xbf5db3d7, v33
	v_fmac_f32_e32 v33, 0x3f5db3d7, v6
	v_add_f32_e32 v6, v32, v3
	v_add_f32_e32 v3, v3, v37
	v_fmac_f32_e32 v32, -0.5, v3
	v_sub_f32_e32 v3, v44, v45
	v_add_f32_e32 v39, v6, v37
	v_fmamk_f32 v37, v3, 0xbf5db3d7, v32
	v_fmac_f32_e32 v32, 0x3f5db3d7, v3
	v_add_f32_e32 v3, v24, v20
	v_add_f32_e32 v8, v9, v24
	v_fmac_f32_e32 v9, -0.5, v3
	v_sub_f32_e32 v3, v15, v28
	v_mul_f32_e32 v21, 0x3f5db3d7, v3
	v_mov_b32_e32 v6, v9
	v_pk_add_f32 v[14:15], v[8:9], v[20:21]
	v_sub_f32_e32 v20, v27, v29
	v_mov_b32_e32 v8, 0x3f5db3d7
	v_mov_b32_e32 v9, v5
	v_mov_b32_e32 v21, v22
	v_fmac_f32_e32 v6, 0xbf5db3d7, v3
	v_add_f32_e32 v3, v22, v18
	v_pk_mul_f32 v[8:9], v[8:9], v[20:21]
	v_pk_add_f32 v[4:5], v[4:5], v[20:21]
	v_fmac_f32_e32 v2, -0.5, v3
	v_mov_b32_e32 v9, v5
	v_mov_b32_e32 v3, v18
	v_pk_add_f32 v[4:5], v[8:9], v[2:3]
	s_waitcnt lgkmcnt(0)
	s_barrier
	ds_write2_b32 v53, v54, v38 offset1:30
	ds_write_b32 v53, v33 offset:240
	ds_write2_b32 v35, v39, v37 offset1:30
	ds_write_b32 v35, v32 offset:240
	;; [unrolled: 2-line block ×3, first 2 shown]
	s_and_saveexec_b64 s[6:7], s[2:3]
	s_xor_b64 s[6:7], exec, s[6:7]
; %bb.36:
                                        ; implicit-def: $vgpr36
                                        ; implicit-def: $vgpr47
; %bb.37:
	s_or_saveexec_b64 s[6:7], s[6:7]
	v_sub_f32_e32 v2, v2, v8
	s_xor_b64 exec, exec, s[6:7]
	s_cbranch_execz .LBB0_39
; %bb.38:
	v_mul_lo_u16_e32 v3, 0x5a, v36
	v_lshlrev_b32_e32 v3, 2, v3
	v_add3_u32 v3, 0, v47, v3
	ds_write2_b32 v3, v5, v2 offset1:30
	ds_write_b32 v3, v4 offset:240
.LBB0_39:
	s_or_b64 exec, exec, s[6:7]
	s_waitcnt lgkmcnt(0)
	s_barrier
	ds_read_b32 v32, v40
	ds_read_b32 v21, v40 offset:1080
	ds_read_b32 v20, v40 offset:2160
	;; [unrolled: 1-line block ×5, first 2 shown]
	s_and_saveexec_b64 s[6:7], s[4:5]
	s_xor_b64 s[6:7], exec, s[6:7]
	s_andn2_saveexec_b64 s[6:7], s[6:7]
	s_cbranch_execz .LBB0_41
; %bb.40:
	ds_read_b32 v14, v52
	ds_read_b32 v6, v40 offset:1728
	ds_read_b32 v15, v40 offset:2808
	;; [unrolled: 1-line block ×5, first 2 shown]
.LBB0_41:
	s_or_b64 exec, exec, s[6:7]
	s_movk_i32 s6, 0x5a
	v_add_u32_e32 v18, 0xffffffa6, v48
	v_cmp_gt_u32_e64 s[6:7], s6, v48
	v_mov_b32_e32 v29, 0
	s_nop 0
	v_cndmask_b32_e64 v47, v18, v48, s[6:7]
	s_movk_i32 s6, 0x2d83
	v_mul_u32_u24_sdwa v18, v50, s6 dst_sel:DWORD dst_unused:UNUSED_PAD src0_sel:WORD_0 src1_sel:DWORD
	v_mul_i32_i24_e32 v28, 5, v47
	v_lshrrev_b32_e32 v33, 20, v18
	v_lshl_add_u64 v[28:29], v[28:29], 3, s[8:9]
	v_mul_lo_u16_e32 v18, 0x5a, v33
	global_load_dwordx4 v[54:57], v[28:29], off offset:640
	global_load_dwordx4 v[58:61], v[28:29], off offset:656
	global_load_dwordx2 v[44:45], v[28:29], off offset:672
	v_sub_u16_e32 v18, v50, v18
	v_mul_u32_u24_e32 v22, 5, v18
	v_lshlrev_b32_e32 v22, 3, v22
	global_load_dwordx4 v[62:65], v22, s[8:9] offset:640
	global_load_dwordx4 v[66:69], v22, s[8:9] offset:656
	global_load_dwordx2 v[28:29], v22, s[8:9] offset:672
	s_mov_b32 s6, 0x3f5db3d7
	s_waitcnt lgkmcnt(0)
	s_barrier
	s_waitcnt vmcnt(5)
	v_mul_f32_e32 v22, v21, v55
	v_mul_f32_e32 v24, v20, v57
	;; [unrolled: 1-line block ×3, first 2 shown]
	s_waitcnt vmcnt(4)
	v_mul_f32_e32 v27, v9, v59
	v_mul_f32_e32 v36, v26, v59
	;; [unrolled: 1-line block ×4, first 2 shown]
	s_waitcnt vmcnt(3)
	v_mul_f32_e32 v53, v3, v45
	v_mul_f32_e32 v37, v23, v45
	v_mul_f32_e32 v35, v31, v55
	v_fma_f32 v34, v31, v54, -v22
	v_fma_f32 v41, v30, v56, -v24
	v_fmac_f32_e32 v38, v20, v56
	v_fma_f32 v20, v26, v58, -v27
	v_fmac_f32_e32 v36, v9, v58
	;; [unrolled: 2-line block ×4, first 2 shown]
	v_fmac_f32_e32 v35, v21, v54
	v_add_f32_e32 v3, v19, v41
	v_add_f32_e32 v9, v41, v43
	;; [unrolled: 1-line block ×5, first 2 shown]
	v_sub_f32_e32 v30, v38, v39
	v_sub_f32_e32 v31, v36, v37
	;; [unrolled: 1-line block ×3, first 2 shown]
	s_waitcnt vmcnt(2)
	v_mul_f32_e32 v22, v12, v65
	s_waitcnt vmcnt(1)
	v_mul_f32_e32 v45, v2, v69
	v_mul_f32_e32 v24, v10, v69
	v_add_f32_e32 v3, v3, v43
	v_fmac_f32_e32 v19, -0.5, v9
	v_add_f32_e32 v54, v21, v8
	v_fmac_f32_e32 v34, -0.5, v26
	v_fma_f32 v44, -0.5, v27, v35
	v_pk_mul_f32 v[8:9], v[6:7], v[62:63] op_sel_hi:[0,1]
	v_pk_mul_f32 v[20:21], v[4:5], v[66:67] op_sel:[1,0]
	s_waitcnt vmcnt(0)
	v_pk_mul_f32 v[26:27], v[4:5], v[28:29] op_sel_hi:[0,1]
	v_mul_f32_e32 v23, v12, v64
	v_mul_f32_e32 v25, v15, v65
	v_fmac_f32_e32 v22, v15, v64
	v_fma_f32 v5, v10, v68, -v45
	v_fmac_f32_e32 v24, v2, v68
	v_fmamk_f32 v4, v30, 0x3f5db3d7, v19
	v_fmac_f32_e32 v19, 0xbf5db3d7, v30
	v_fmamk_f32 v45, v31, 0x3f5db3d7, v34
	;; [unrolled: 2-line block ×3, first 2 shown]
	v_fmac_f32_e32 v44, 0x3f5db3d7, v53
	v_add_f32_e32 v53, v3, v54
	v_sub_f32_e32 v56, v3, v54
	v_pk_fma_f32 v[2:3], v[16:17], v[62:63], v[8:9] op_sel:[0,0,1] op_sel_hi:[1,1,0] neg_lo:[0,0,1] neg_hi:[0,0,1]
	v_pk_fma_f32 v[30:31], v[16:17], v[62:63], v[8:9] op_sel:[0,0,1] op_sel_hi:[0,1,0]
	v_pk_fma_f32 v[54:55], v[10:11], v[66:67], v[20:21] op_sel:[1,0,1] op_sel_hi:[1,1,0] neg_lo:[0,0,1] neg_hi:[0,0,1]
	v_pk_fma_f32 v[10:11], v[10:11], v[66:67], v[20:21] op_sel:[1,0,1] op_sel_hi:[1,1,0]
	;; [unrolled: 2-line block ×3, first 2 shown]
	v_mov_b32_e32 v55, v11
	v_mov_b32_e32 v9, v13
	v_mul_f32_e32 v12, -0.5, v34
	v_mov_b32_e32 v3, v31
	v_pk_add_f32 v[10:11], v[54:55], v[8:9]
	v_fmac_f32_e32 v12, 0x3f5db3d7, v44
	v_pk_add_f32 v[20:21], v[2:3], v[54:55]
	v_pk_fma_f32 v[2:3], -0.5, v[10:11], v[2:3] op_sel_hi:[0,1,1]
	v_pk_add_f32 v[10:11], v[54:55], v[8:9] neg_lo:[0,1] neg_hi:[0,1]
	v_add_f32_e32 v58, v19, v12
	v_sub_f32_e32 v19, v19, v12
	v_pk_mul_f32 v[12:13], v[10:11], s[6:7] op_sel_hi:[1,0]
	v_pk_add_f32 v[30:31], v[22:23], v[24:25] neg_lo:[0,1] neg_hi:[0,1]
	v_mul_f32_e32 v6, 0x3f5db3d7, v15
	v_pk_add_f32 v[26:27], v[2:3], v[12:13] op_sel:[0,1] op_sel_hi:[1,0] neg_lo:[0,1] neg_hi:[0,1]
	v_pk_fma_f32 v[28:29], v[10:11], s[6:7], v[2:3] op_sel:[0,0,1] op_sel_hi:[1,0,0]
	v_add_f32_e32 v3, v31, v5
	v_mov_b32_e32 v10, 0x3f5db3d7
	v_mov_b32_e32 v11, v17
	v_fmac_f32_e32 v6, 0.5, v45
	v_fmac_f32_e32 v7, -0.5, v3
	v_pk_mul_f32 v[12:13], v[10:11], v[30:31]
	v_pk_add_f32 v[10:11], v[16:17], v[30:31]
	v_add_f32_e32 v57, v4, v6
	v_sub_f32_e32 v59, v4, v6
	v_mov_b32_e32 v13, v11
	v_mov_b32_e32 v4, v7
	s_movk_i32 s6, 0x59
	v_pk_add_f32 v[10:11], v[12:13], v[4:5]
	v_mov_b32_e32 v4, 0x870
	v_cmp_lt_u32_e64 s[6:7], s6, v48
	v_lshlrev_b32_e32 v13, 2, v47
	v_mul_f32_e32 v2, 0.5, v29
	v_cndmask_b32_e64 v4, 0, v4, s[6:7]
	v_mul_f32_e32 v6, 0x3f5db3d7, v27
	v_sub_f32_e32 v12, v7, v12
	v_mov_b32_e32 v3, v20
	v_mov_b32_e32 v7, v8
	v_add3_u32 v30, 0, v4, v13
	v_pk_add_f32 v[6:7], v[2:3], v[6:7]
	v_mul_f32_e32 v8, -0.5, v26
	v_add_u32_e32 v4, 0x200, v30
	v_fmac_f32_e32 v8, 0x3f5db3d7, v28
	v_pk_add_f32 v[2:3], v[10:11], v[6:7] neg_lo:[0,1] neg_hi:[0,1]
	ds_write2_b32 v4, v58, v56 offset0:52 offset1:142
	v_add_u32_e32 v4, 0x400, v30
	ds_write2_b32 v30, v53, v57 offset1:90
	ds_write2_b32 v4, v59, v19 offset0:104 offset1:194
	s_and_saveexec_b64 s[6:7], s[4:5]
	s_xor_b64 s[6:7], exec, s[6:7]
; %bb.42:
                                        ; implicit-def: $vgpr10_vgpr11
                                        ; implicit-def: $vgpr6_vgpr7
; %bb.43:
	s_or_saveexec_b64 s[6:7], s[6:7]
	v_sub_f32_e32 v4, v12, v8
	v_lshlrev_b32_e32 v17, 2, v18
	s_xor_b64 exec, exec, s[6:7]
	s_cbranch_execz .LBB0_45
; %bb.44:
	v_pk_add_f32 v[6:7], v[10:11], v[6:7]
	v_mul_lo_u16_e32 v10, 0x21c, v33
	v_lshlrev_b32_e32 v10, 2, v10
	v_add3_u32 v10, 0, v17, v10
	v_add_f32_e32 v8, v12, v8
	ds_write2_b32 v10, v7, v6 offset1:90
	v_add_u32_e32 v6, 0x200, v10
	ds_write2_b32 v6, v8, v3 offset0:52 offset1:142
	v_add_u32_e32 v6, 0x400, v10
	ds_write2_b32 v6, v2, v4 offset0:104 offset1:194
.LBB0_45:
	s_or_b64 exec, exec, s[6:7]
	v_add_u32_e32 v6, 0x800, v40
	s_waitcnt lgkmcnt(0)
	s_barrier
	ds_read2_b32 v[18:19], v6 offset0:28 offset1:190
	v_add_u32_e32 v6, 0xd00, v40
	ds_read2_b32 v[12:13], v6 offset0:32 offset1:248
	ds_read_b32 v16, v52
	v_add_u32_e32 v6, 0x1200, v40
	ds_read2_b32 v[10:11], v6 offset0:90 offset1:252
	ds_read_b32 v20, v40
	ds_read_b32 v8, v46
	s_and_saveexec_b64 s[6:7], s[2:3]
	s_xor_b64 s[6:7], exec, s[6:7]
	s_andn2_saveexec_b64 s[6:7], s[6:7]
	s_cbranch_execz .LBB0_47
; %bb.46:
	ds_read_b32 v3, v42
	ds_read_b32 v2, v40 offset:4104
	ds_read_b32 v4, v40 offset:6264
.LBB0_47:
	s_or_b64 exec, exec, s[6:7]
	v_add_f32_e32 v7, v38, v39
	v_add_f32_e32 v6, v32, v38
	v_fmac_f32_e32 v32, -0.5, v7
	v_sub_f32_e32 v7, v41, v43
	v_fmamk_f32 v23, v7, 0xbf5db3d7, v32
	v_fmac_f32_e32 v32, 0x3f5db3d7, v7
	v_add_f32_e32 v7, v35, v36
	v_add_f32_e32 v6, v6, v39
	v_add_f32_e32 v7, v7, v37
	v_mul_f32_e32 v36, -0.5, v44
	v_add_f32_e32 v35, v6, v7
	v_mul_f32_e32 v25, 0xbf5db3d7, v45
	v_fmac_f32_e32 v36, 0xbf5db3d7, v34
	v_sub_f32_e32 v37, v6, v7
	v_add_f32_e32 v6, v14, v22
	v_fmac_f32_e32 v25, 0.5, v15
	v_add_f32_e32 v34, v32, v36
	v_sub_f32_e32 v36, v32, v36
	v_add_f32_e32 v32, v6, v24
	v_add_f32_e32 v6, v22, v24
	v_sub_f32_e32 v5, v31, v5
	s_mov_b32 s10, 0xbf5db3d7
	v_add_f32_e32 v15, v23, v25
	v_fmac_f32_e32 v14, -0.5, v6
	v_mul_f32_e32 v6, 0x3f5db3d7, v5
	s_mov_b32 s6, -0.5
	s_mov_b32 s11, 0.5
	v_sub_f32_e32 v38, v23, v25
	v_pk_add_f32 v[22:23], v[14:15], v[6:7]
	v_pk_add_f32 v[6:7], v[14:15], v[6:7] neg_lo:[0,1] neg_hi:[0,1]
	s_mov_b32 s7, s10
	v_mov_b32_e32 v23, v6
	v_pk_mul_f32 v[6:7], v[28:29], s[6:7]
	v_add_u32_e32 v5, 0x200, v30
	v_pk_fma_f32 v[24:25], v[26:27], s[10:11], v[6:7]
	v_add_f32_e32 v9, v21, v9
	v_pk_add_f32 v[6:7], v[22:23], v[24:25] neg_lo:[0,1] neg_hi:[0,1]
	s_waitcnt lgkmcnt(0)
	s_barrier
	ds_write2_b32 v5, v34, v37 offset0:52 offset1:142
	v_add_u32_e32 v5, 0x400, v30
	ds_write2_b32 v30, v35, v15 offset1:90
	ds_write2_b32 v5, v38, v36 offset0:104 offset1:194
	s_and_saveexec_b64 s[6:7], s[4:5]
	s_xor_b64 s[4:5], exec, s[6:7]
; %bb.48:
                                        ; implicit-def: $vgpr22_vgpr23
                                        ; implicit-def: $vgpr24_vgpr25
                                        ; implicit-def: $vgpr33
                                        ; implicit-def: $vgpr17
; %bb.49:
	s_or_saveexec_b64 s[4:5], s[4:5]
	v_sub_f32_e32 v15, v32, v9
	s_xor_b64 exec, exec, s[4:5]
	s_cbranch_execz .LBB0_51
; %bb.50:
	v_add_f32_e32 v5, v32, v9
	v_mul_lo_u16_e32 v9, 0x21c, v33
	v_lshlrev_b32_e32 v9, 2, v9
	v_pk_add_f32 v[22:23], v[22:23], v[24:25]
	v_add3_u32 v9, 0, v17, v9
	ds_write2_b32 v9, v5, v23 offset1:90
	v_add_u32_e32 v5, 0x200, v9
	ds_write2_b32 v5, v22, v15 offset0:52 offset1:142
	v_add_u32_e32 v5, 0x400, v9
	ds_write2_b32 v5, v7, v6 offset0:104 offset1:194
.LBB0_51:
	s_or_b64 exec, exec, s[4:5]
	v_add_u32_e32 v5, 0x800, v40
	s_waitcnt lgkmcnt(0)
	s_barrier
	ds_read2_b32 v[28:29], v5 offset0:28 offset1:190
	v_add_u32_e32 v5, 0xd00, v40
	ds_read2_b32 v[24:25], v5 offset0:32 offset1:248
	ds_read_b32 v17, v52
	v_add_u32_e32 v5, 0x1200, v40
	ds_read2_b32 v[22:23], v5 offset0:90 offset1:252
	ds_read_b32 v21, v40
	ds_read_b32 v9, v46
	s_and_saveexec_b64 s[4:5], s[2:3]
	s_xor_b64 s[2:3], exec, s[4:5]
	s_cbranch_execnz .LBB0_55
; %bb.52:
	s_andn2_saveexec_b64 s[2:3], s[2:3]
	s_cbranch_execnz .LBB0_56
.LBB0_53:
	s_or_b64 exec, exec, s[2:3]
	s_and_saveexec_b64 s[2:3], vcc
	s_cbranch_execnz .LBB0_57
.LBB0_54:
	s_endpgm
.LBB0_55:
                                        ; implicit-def: $vgpr42
                                        ; implicit-def: $vgpr40
	s_andn2_saveexec_b64 s[2:3], s[2:3]
	s_cbranch_execz .LBB0_53
.LBB0_56:
	ds_read_b32 v15, v42
	ds_read_b32 v7, v40 offset:4104
	ds_read_b32 v6, v40 offset:6264
	s_or_b64 exec, exec, s[2:3]
	s_and_saveexec_b64 s[2:3], vcc
	s_cbranch_execz .LBB0_54
.LBB0_57:
	v_lshlrev_b32_e32 v26, 1, v51
	v_mov_b32_e32 v27, 0
	v_lshl_add_u64 v[38:39], v[26:27], 3, s[8:9]
	v_lshlrev_b32_e32 v26, 1, v50
	v_lshl_add_u64 v[34:35], v[26:27], 3, s[8:9]
	v_lshlrev_b32_e32 v26, 1, v48
	v_lshl_add_u64 v[30:31], v[26:27], 3, s[8:9]
	s_movk_i32 s6, 0x1000
	v_add_co_u32_e32 v30, vcc, s6, v30
	v_mad_u64_u32 v[42:43], s[2:3], s12, v48, 0
	s_nop 0
	v_addc_co_u32_e32 v31, vcc, 0, v31, vcc
	global_load_dwordx4 v[30:33], v[30:31], off offset:144
	v_add_co_u32_e32 v34, vcc, s6, v34
	v_mov_b32_e32 v40, v43
	s_nop 0
	v_addc_co_u32_e32 v35, vcc, 0, v35, vcc
	global_load_dwordx4 v[34:37], v[34:35], off offset:144
	v_add_co_u32_e32 v38, vcc, s6, v38
	v_mad_u64_u32 v[40:41], s[4:5], s13, v48, v[40:41]
	s_nop 0
	v_addc_co_u32_e32 v39, vcc, 0, v39, vcc
	v_mov_b32_e32 v43, v40
	global_load_dwordx4 v[38:41], v[38:39], off offset:144
	v_add_u32_e32 v5, 0x21c, v48
	v_add_u32_e32 v45, 0x438, v48
	v_mov_b32_e32 v26, v13
	v_mov_b32_e32 v44, v13
	v_add_u32_e32 v13, 0xa2, v48
	v_mad_u64_u32 v[46:47], s[4:5], s12, v5, 0
	v_mad_u64_u32 v[50:51], s[4:5], s12, v45, 0
	;; [unrolled: 1-line block ×3, first 2 shown]
	v_mov_b32_e32 v58, v47
	v_mov_b32_e32 v60, v51
	s_waitcnt lgkmcnt(4)
	v_mov_b32_e32 v14, v25
	v_mov_b32_e32 v62, v53
	v_mad_u64_u32 v[58:59], s[4:5], s13, v5, v[58:59]
	v_mad_u64_u32 v[60:61], s[4:5], s13, v45, v[60:61]
	;; [unrolled: 1-line block ×3, first 2 shown]
	v_mov_b32_e32 v47, v58
	v_mov_b32_e32 v51, v60
	;; [unrolled: 1-line block ×3, first 2 shown]
	s_movk_i32 s3, 0x438
	s_mov_b32 s2, 0x3f5db3d7
	v_lshl_add_u64 v[42:43], v[42:43], 3, v[0:1]
	v_lshl_add_u64 v[46:47], v[46:47], 3, v[0:1]
	v_add_u32_e32 v25, 0x2be, v48
	v_add_u32_e32 v67, 0x4da, v48
	v_lshl_add_u64 v[50:51], v[50:51], 3, v[0:1]
	v_mad_u64_u32 v[54:55], s[4:5], s12, v25, 0
	v_mad_u64_u32 v[56:57], s[4:5], s12, v67, 0
	v_mov_b32_e32 v64, v55
	v_mov_b32_e32 v66, v57
	v_mad_u64_u32 v[64:65], s[4:5], s13, v25, v[64:65]
	v_add_u32_e32 v5, 0x144, v48
	v_mov_b32_e32 v55, v64
	v_lshl_add_u64 v[52:53], v[52:53], 3, v[0:1]
	v_lshl_add_u64 v[54:55], v[54:55], 3, v[0:1]
	s_waitcnt vmcnt(2)
	v_pk_mul_f32 v[58:59], v[28:29], v[30:31] op_sel_hi:[0,1]
	s_waitcnt lgkmcnt(2)
	v_pk_mul_f32 v[60:61], v[14:15], v[32:33] op_sel_hi:[0,1]
	v_pk_fma_f32 v[62:63], v[18:19], v[30:31], v[58:59] op_sel:[0,0,1] op_sel_hi:[1,1,0] neg_lo:[0,0,1] neg_hi:[0,0,1]
	v_pk_fma_f32 v[30:31], v[18:19], v[30:31], v[58:59] op_sel:[0,0,1] op_sel_hi:[0,1,0]
	v_pk_fma_f32 v[58:59], v[26:27], v[32:33], v[60:61] op_sel:[0,0,1] op_sel_hi:[1,1,0] neg_lo:[0,0,1] neg_hi:[0,0,1]
	v_pk_fma_f32 v[32:33], v[44:45], v[32:33], v[60:61] op_sel:[0,0,1] op_sel_hi:[0,1,0]
	v_mov_b32_e32 v63, v31
	v_mov_b32_e32 v59, v33
	v_pk_add_f32 v[30:31], v[62:63], v[58:59]
	v_pk_add_f32 v[32:33], v[62:63], v[58:59] neg_lo:[0,1] neg_hi:[0,1]
	s_waitcnt lgkmcnt(1)
	v_pk_add_f32 v[44:45], v[20:21], v[62:63]
	v_pk_fma_f32 v[20:21], v[30:31], 0.5, v[20:21] op_sel_hi:[1,0,1] neg_lo:[1,0,0] neg_hi:[1,0,0]
	v_pk_mul_f32 v[30:31], v[32:33], s[2:3] op_sel_hi:[1,0]
	v_pk_add_f32 v[32:33], v[44:45], v[58:59]
	v_pk_add_f32 v[44:45], v[20:21], v[30:31] op_sel:[0,1] op_sel_hi:[1,0] neg_lo:[0,1] neg_hi:[0,1]
	v_pk_add_f32 v[20:21], v[20:21], v[30:31] op_sel:[0,1] op_sel_hi:[1,0]
	v_mov_b32_e32 v14, v29
	v_mov_b32_e32 v30, v20
	;; [unrolled: 1-line block ×3, first 2 shown]
	s_waitcnt vmcnt(1)
	v_pk_mul_f32 v[28:29], v[14:15], v[34:35] op_sel_hi:[0,1]
	v_mov_b32_e32 v14, v19
	v_mov_b32_e32 v18, v19
	global_store_dwordx2 v[42:43], v[32:33], off
	v_mov_b32_e32 v45, v21
	global_store_dwordx2 v[46:47], v[30:31], off
	global_store_dwordx2 v[50:51], v[44:45], off
	v_pk_fma_f32 v[30:31], v[14:15], v[34:35], v[28:29] op_sel:[0,0,1] op_sel_hi:[1,1,0] neg_lo:[0,0,1] neg_hi:[0,0,1]
	v_pk_fma_f32 v[18:19], v[18:19], v[34:35], v[28:29] op_sel:[0,0,1] op_sel_hi:[0,1,0]
	v_mov_b32_e32 v31, v19
	v_pk_mul_f32 v[18:19], v[22:23], v[36:37] op_sel_hi:[0,1]
	v_pk_fma_f32 v[28:29], v[10:11], v[36:37], v[18:19] op_sel:[0,0,1] op_sel_hi:[1,1,0] neg_lo:[0,0,1] neg_hi:[0,0,1]
	v_pk_fma_f32 v[18:19], v[10:11], v[36:37], v[18:19] op_sel:[0,0,1] op_sel_hi:[0,1,0]
	v_mad_u64_u32 v[20:21], s[4:5], s13, v67, v[66:67]
	v_mov_b32_e32 v29, v19
	v_pk_add_f32 v[18:19], v[30:31], v[28:29]
	v_pk_add_f32 v[32:33], v[30:31], v[28:29] neg_lo:[0,1] neg_hi:[0,1]
	s_mov_b32 s4, 0xf2b9d649
	v_pk_fma_f32 v[18:19], v[18:19], 0.5, v[16:17] op_sel_hi:[1,0,1] neg_lo:[1,0,0] neg_hi:[1,0,0]
	v_pk_mul_f32 v[32:33], v[32:33], s[2:3] op_sel_hi:[1,0]
	v_pk_add_f32 v[16:17], v[16:17], v[30:31]
	v_mul_hi_u32 v10, v5, s4
	v_pk_add_f32 v[34:35], v[18:19], v[32:33] op_sel:[0,1] op_sel_hi:[1,0] neg_lo:[0,1] neg_hi:[0,1]
	v_pk_add_f32 v[18:19], v[18:19], v[32:33] op_sel:[0,1] op_sel_hi:[1,0]
	v_pk_add_f32 v[16:17], v[16:17], v[28:29]
	v_lshrrev_b32_e32 v10, 9, v10
	global_store_dwordx2 v[52:53], v[16:17], off
	v_mov_b32_e32 v16, v18
	v_mov_b32_e32 v17, v35
	v_mad_u32_u24 v5, v10, s3, v5
	global_store_dwordx2 v[54:55], v[16:17], off
	v_mad_u64_u32 v[16:17], s[4:5], s12, v5, 0
	v_mov_b32_e32 v10, v17
	v_mov_b32_e32 v35, v19
	v_mad_u64_u32 v[18:19], s[4:5], s13, v5, v[10:11]
	v_add_u32_e32 v13, 0x21c, v5
	v_mov_b32_e32 v57, v20
	v_mov_b32_e32 v17, v18
	v_mad_u64_u32 v[18:19], s[4:5], s12, v13, 0
	v_lshl_add_u64 v[20:21], v[56:57], 3, v[0:1]
	v_mov_b32_e32 v10, v19
	global_store_dwordx2 v[20:21], v[34:35], off
	v_mad_u64_u32 v[20:21], s[4:5], s13, v13, v[10:11]
	v_add_u32_e32 v5, 0x438, v5
	v_mov_b32_e32 v19, v20
	v_mad_u64_u32 v[20:21], s[4:5], s12, v5, 0
	v_mov_b32_e32 v10, v21
	v_mad_u64_u32 v[28:29], s[4:5], s13, v5, v[10:11]
	s_waitcnt vmcnt(6)
	v_pk_mul_f32 v[24:25], v[24:25], v[38:39] op_sel_hi:[0,1]
	v_mov_b32_e32 v21, v28
	v_pk_fma_f32 v[28:29], v[12:13], v[38:39], v[24:25] op_sel:[0,0,1] op_sel_hi:[1,1,0] neg_lo:[0,0,1] neg_hi:[0,0,1]
	v_pk_fma_f32 v[12:13], v[12:13], v[38:39], v[24:25] op_sel:[0,0,1] op_sel_hi:[0,1,0]
	v_mov_b32_e32 v10, v23
	v_mov_b32_e32 v29, v13
	v_pk_mul_f32 v[12:13], v[10:11], v[40:41] op_sel_hi:[0,1]
	v_mov_b32_e32 v10, v11
	v_mov_b32_e32 v14, v11
	v_pk_fma_f32 v[10:11], v[10:11], v[40:41], v[12:13] op_sel:[0,0,1] op_sel_hi:[1,1,0] neg_lo:[0,0,1] neg_hi:[0,0,1]
	v_pk_fma_f32 v[12:13], v[14:15], v[40:41], v[12:13] op_sel:[0,0,1] op_sel_hi:[0,1,0]
	v_mov_b32_e32 v11, v13
	v_pk_add_f32 v[12:13], v[28:29], v[10:11]
	v_pk_add_f32 v[22:23], v[28:29], v[10:11] neg_lo:[0,1] neg_hi:[0,1]
	s_waitcnt lgkmcnt(0)
	v_pk_fma_f32 v[12:13], v[12:13], 0.5, v[8:9] op_sel_hi:[1,0,1] neg_lo:[1,0,0] neg_hi:[1,0,0]
	v_pk_mul_f32 v[22:23], v[22:23], s[2:3] op_sel_hi:[1,0]
	v_pk_add_f32 v[8:9], v[8:9], v[28:29]
	v_lshl_add_u64 v[16:17], v[16:17], 3, v[0:1]
	v_pk_add_f32 v[24:25], v[12:13], v[22:23] op_sel:[0,1] op_sel_hi:[1,0] neg_lo:[0,1] neg_hi:[0,1]
	v_pk_add_f32 v[12:13], v[12:13], v[22:23] op_sel:[0,1] op_sel_hi:[1,0]
	v_pk_add_f32 v[8:9], v[8:9], v[10:11]
	v_lshl_add_u64 v[18:19], v[18:19], 3, v[0:1]
	v_lshl_add_u64 v[20:21], v[20:21], 3, v[0:1]
	global_store_dwordx2 v[16:17], v[8:9], off
	v_mov_b32_e32 v8, v12
	v_mov_b32_e32 v9, v25
	;; [unrolled: 1-line block ×3, first 2 shown]
	global_store_dwordx2 v[18:19], v[8:9], off
	global_store_dwordx2 v[20:21], v[24:25], off
	s_and_b64 exec, exec, s[0:1]
	s_cbranch_execz .LBB0_54
; %bb.58:
	v_subrev_u32_e32 v5, 54, v48
	v_cndmask_b32_e64 v5, v5, v49, s[0:1]
	v_lshlrev_b32_e32 v26, 1, v5
	v_lshl_add_u64 v[8:9], v[26:27], 3, s[8:9]
	v_add_co_u32_e32 v8, vcc, 0x1000, v8
	v_add_u32_e32 v5, 0x1e6, v48
	s_nop 0
	v_addc_co_u32_e32 v9, vcc, 0, v9, vcc
	global_load_dwordx4 v[8:11], v[8:9], off offset:144
	v_add_u32_e32 v23, 0x402, v48
	v_add_u32_e32 v25, 0x61e, v48
	v_mad_u64_u32 v[12:13], s[0:1], s12, v5, 0
	v_mad_u64_u32 v[16:17], s[0:1], s12, v23, 0
	;; [unrolled: 1-line block ×3, first 2 shown]
	v_mov_b32_e32 v20, v13
	v_mov_b32_e32 v22, v17
	;; [unrolled: 1-line block ×3, first 2 shown]
	v_mad_u64_u32 v[20:21], s[0:1], s13, v5, v[20:21]
	v_mad_u64_u32 v[22:23], s[0:1], s13, v23, v[22:23]
	;; [unrolled: 1-line block ×3, first 2 shown]
	v_mov_b32_e32 v13, v20
	v_mov_b32_e32 v17, v22
	v_mov_b32_e32 v19, v24
	v_lshl_add_u64 v[12:13], v[12:13], 3, v[0:1]
	v_lshl_add_u64 v[16:17], v[16:17], 3, v[0:1]
	;; [unrolled: 1-line block ×3, first 2 shown]
	v_mov_b32_e32 v14, v3
	s_waitcnt vmcnt(0)
	v_pk_mul_f32 v[18:19], v[6:7], v[8:9] op_sel:[1,0]
	v_pk_mul_f32 v[6:7], v[6:7], v[10:11] op_sel_hi:[0,1]
	v_pk_fma_f32 v[20:21], v[2:3], v[8:9], v[18:19] op_sel:[0,0,1] op_sel_hi:[1,1,0] neg_lo:[0,0,1] neg_hi:[0,0,1]
	v_pk_fma_f32 v[2:3], v[2:3], v[8:9], v[18:19] op_sel:[0,0,1] op_sel_hi:[0,1,0]
	v_pk_fma_f32 v[8:9], v[4:5], v[10:11], v[6:7] op_sel:[0,0,1] op_sel_hi:[1,1,0] neg_lo:[0,0,1] neg_hi:[0,0,1]
	v_pk_fma_f32 v[4:5], v[4:5], v[10:11], v[6:7] op_sel:[0,0,1] op_sel_hi:[0,1,0]
	v_mov_b32_e32 v21, v3
	v_mov_b32_e32 v9, v5
	v_pk_add_f32 v[2:3], v[20:21], v[8:9]
	v_pk_add_f32 v[4:5], v[20:21], v[8:9] neg_lo:[0,1] neg_hi:[0,1]
	v_pk_add_f32 v[6:7], v[14:15], v[20:21]
	v_pk_fma_f32 v[2:3], -0.5, v[2:3], v[14:15] op_sel_hi:[0,1,1]
	v_pk_mul_f32 v[4:5], v[4:5], s[2:3] op_sel_hi:[1,0]
	v_pk_add_f32 v[6:7], v[6:7], v[8:9]
	v_pk_add_f32 v[8:9], v[2:3], v[4:5] op_sel:[0,1] op_sel_hi:[1,0]
	v_pk_add_f32 v[2:3], v[2:3], v[4:5] op_sel:[0,1] op_sel_hi:[1,0] neg_lo:[0,1] neg_hi:[0,1]
	v_mov_b32_e32 v4, v8
	v_mov_b32_e32 v5, v3
	global_store_dwordx2 v[12:13], v[6:7], off
	v_mov_b32_e32 v3, v9
	global_store_dwordx2 v[16:17], v[4:5], off
	global_store_dwordx2 v[0:1], v[2:3], off
	s_endpgm
	.section	.rodata,"a",@progbits
	.p2align	6, 0x0
	.amdhsa_kernel fft_rtc_fwd_len1620_factors_10_3_3_6_3_wgs_162_tpt_162_halfLds_sp_ip_CI_sbrr_dirReg
		.amdhsa_group_segment_fixed_size 0
		.amdhsa_private_segment_fixed_size 0
		.amdhsa_kernarg_size 88
		.amdhsa_user_sgpr_count 2
		.amdhsa_user_sgpr_dispatch_ptr 0
		.amdhsa_user_sgpr_queue_ptr 0
		.amdhsa_user_sgpr_kernarg_segment_ptr 1
		.amdhsa_user_sgpr_dispatch_id 0
		.amdhsa_user_sgpr_kernarg_preload_length 0
		.amdhsa_user_sgpr_kernarg_preload_offset 0
		.amdhsa_user_sgpr_private_segment_size 0
		.amdhsa_uses_dynamic_stack 0
		.amdhsa_enable_private_segment 0
		.amdhsa_system_sgpr_workgroup_id_x 1
		.amdhsa_system_sgpr_workgroup_id_y 0
		.amdhsa_system_sgpr_workgroup_id_z 0
		.amdhsa_system_sgpr_workgroup_info 0
		.amdhsa_system_vgpr_workitem_id 0
		.amdhsa_next_free_vgpr 79
		.amdhsa_next_free_sgpr 24
		.amdhsa_accum_offset 80
		.amdhsa_reserve_vcc 1
		.amdhsa_float_round_mode_32 0
		.amdhsa_float_round_mode_16_64 0
		.amdhsa_float_denorm_mode_32 3
		.amdhsa_float_denorm_mode_16_64 3
		.amdhsa_dx10_clamp 1
		.amdhsa_ieee_mode 1
		.amdhsa_fp16_overflow 0
		.amdhsa_tg_split 0
		.amdhsa_exception_fp_ieee_invalid_op 0
		.amdhsa_exception_fp_denorm_src 0
		.amdhsa_exception_fp_ieee_div_zero 0
		.amdhsa_exception_fp_ieee_overflow 0
		.amdhsa_exception_fp_ieee_underflow 0
		.amdhsa_exception_fp_ieee_inexact 0
		.amdhsa_exception_int_div_zero 0
	.end_amdhsa_kernel
	.text
.Lfunc_end0:
	.size	fft_rtc_fwd_len1620_factors_10_3_3_6_3_wgs_162_tpt_162_halfLds_sp_ip_CI_sbrr_dirReg, .Lfunc_end0-fft_rtc_fwd_len1620_factors_10_3_3_6_3_wgs_162_tpt_162_halfLds_sp_ip_CI_sbrr_dirReg
                                        ; -- End function
	.section	.AMDGPU.csdata,"",@progbits
; Kernel info:
; codeLenInByte = 8820
; NumSgprs: 30
; NumVgprs: 79
; NumAgprs: 0
; TotalNumVgprs: 79
; ScratchSize: 0
; MemoryBound: 0
; FloatMode: 240
; IeeeMode: 1
; LDSByteSize: 0 bytes/workgroup (compile time only)
; SGPRBlocks: 3
; VGPRBlocks: 9
; NumSGPRsForWavesPerEU: 30
; NumVGPRsForWavesPerEU: 79
; AccumOffset: 80
; Occupancy: 6
; WaveLimiterHint : 1
; COMPUTE_PGM_RSRC2:SCRATCH_EN: 0
; COMPUTE_PGM_RSRC2:USER_SGPR: 2
; COMPUTE_PGM_RSRC2:TRAP_HANDLER: 0
; COMPUTE_PGM_RSRC2:TGID_X_EN: 1
; COMPUTE_PGM_RSRC2:TGID_Y_EN: 0
; COMPUTE_PGM_RSRC2:TGID_Z_EN: 0
; COMPUTE_PGM_RSRC2:TIDIG_COMP_CNT: 0
; COMPUTE_PGM_RSRC3_GFX90A:ACCUM_OFFSET: 19
; COMPUTE_PGM_RSRC3_GFX90A:TG_SPLIT: 0
	.text
	.p2alignl 6, 3212836864
	.fill 256, 4, 3212836864
	.type	__hip_cuid_801d859cd2a19c1f,@object ; @__hip_cuid_801d859cd2a19c1f
	.section	.bss,"aw",@nobits
	.globl	__hip_cuid_801d859cd2a19c1f
__hip_cuid_801d859cd2a19c1f:
	.byte	0                               ; 0x0
	.size	__hip_cuid_801d859cd2a19c1f, 1

	.ident	"AMD clang version 19.0.0git (https://github.com/RadeonOpenCompute/llvm-project roc-6.4.0 25133 c7fe45cf4b819c5991fe208aaa96edf142730f1d)"
	.section	".note.GNU-stack","",@progbits
	.addrsig
	.addrsig_sym __hip_cuid_801d859cd2a19c1f
	.amdgpu_metadata
---
amdhsa.kernels:
  - .agpr_count:     0
    .args:
      - .actual_access:  read_only
        .address_space:  global
        .offset:         0
        .size:           8
        .value_kind:     global_buffer
      - .offset:         8
        .size:           8
        .value_kind:     by_value
      - .actual_access:  read_only
        .address_space:  global
        .offset:         16
        .size:           8
        .value_kind:     global_buffer
      - .actual_access:  read_only
        .address_space:  global
        .offset:         24
        .size:           8
        .value_kind:     global_buffer
      - .offset:         32
        .size:           8
        .value_kind:     by_value
      - .actual_access:  read_only
        .address_space:  global
        .offset:         40
        .size:           8
        .value_kind:     global_buffer
      - .actual_access:  read_only
        .address_space:  global
        .offset:         48
        .size:           8
        .value_kind:     global_buffer
      - .offset:         56
        .size:           4
        .value_kind:     by_value
      - .actual_access:  read_only
        .address_space:  global
        .offset:         64
        .size:           8
        .value_kind:     global_buffer
      - .actual_access:  read_only
        .address_space:  global
        .offset:         72
        .size:           8
        .value_kind:     global_buffer
      - .address_space:  global
        .offset:         80
        .size:           8
        .value_kind:     global_buffer
    .group_segment_fixed_size: 0
    .kernarg_segment_align: 8
    .kernarg_segment_size: 88
    .language:       OpenCL C
    .language_version:
      - 2
      - 0
    .max_flat_workgroup_size: 162
    .name:           fft_rtc_fwd_len1620_factors_10_3_3_6_3_wgs_162_tpt_162_halfLds_sp_ip_CI_sbrr_dirReg
    .private_segment_fixed_size: 0
    .sgpr_count:     30
    .sgpr_spill_count: 0
    .symbol:         fft_rtc_fwd_len1620_factors_10_3_3_6_3_wgs_162_tpt_162_halfLds_sp_ip_CI_sbrr_dirReg.kd
    .uniform_work_group_size: 1
    .uses_dynamic_stack: false
    .vgpr_count:     79
    .vgpr_spill_count: 0
    .wavefront_size: 64
amdhsa.target:   amdgcn-amd-amdhsa--gfx950
amdhsa.version:
  - 1
  - 2
...

	.end_amdgpu_metadata
